;; amdgpu-corpus repo=ROCm/rocFFT kind=compiled arch=gfx950 opt=O3
	.text
	.amdgcn_target "amdgcn-amd-amdhsa--gfx950"
	.amdhsa_code_object_version 6
	.protected	bluestein_single_fwd_len112_dim1_sp_op_CI_CI ; -- Begin function bluestein_single_fwd_len112_dim1_sp_op_CI_CI
	.globl	bluestein_single_fwd_len112_dim1_sp_op_CI_CI
	.p2align	8
	.type	bluestein_single_fwd_len112_dim1_sp_op_CI_CI,@function
bluestein_single_fwd_len112_dim1_sp_op_CI_CI: ; @bluestein_single_fwd_len112_dim1_sp_op_CI_CI
; %bb.0:
	s_load_dwordx4 s[8:11], s[0:1], 0x28
	v_lshrrev_b32_e32 v1, 4, v0
	v_lshl_or_b32 v44, s2, 4, v1
	v_mov_b32_e32 v45, 0
	s_waitcnt lgkmcnt(0)
	v_cmp_gt_u64_e32 vcc, s[8:9], v[44:45]
	s_and_saveexec_b64 s[2:3], vcc
	s_cbranch_execz .LBB0_15
; %bb.1:
	s_load_dwordx2 s[8:9], s[0:1], 0x0
	s_load_dwordx2 s[12:13], s[0:1], 0x38
	v_and_b32_e32 v47, 15, v0
	v_mul_u32_u24_e32 v48, 0x70, v1
	v_cmp_gt_u32_e32 vcc, 7, v47
	v_lshlrev_b32_e32 v45, 3, v47
	v_or_b32_e32 v36, v48, v47
	v_add_lshl_u32 v17, v48, v47, 3
	v_or_b32_e32 v46, 56, v47
	s_and_saveexec_b64 s[2:3], vcc
	s_cbranch_execz .LBB0_3
; %bb.2:
	s_load_dwordx2 s[4:5], s[0:1], 0x18
	v_mov_b32_e32 v0, s10
	v_mov_b32_e32 v1, s11
	;; [unrolled: 1-line block ×3, first 2 shown]
	s_waitcnt lgkmcnt(0)
	s_load_dwordx4 s[4:7], s[4:5], 0x0
	s_waitcnt lgkmcnt(0)
	v_mad_u64_u32 v[2:3], s[10:11], s6, v44, 0
	v_mad_u64_u32 v[4:5], s[10:11], s4, v47, 0
	v_mov_b32_e32 v6, v3
	v_mov_b32_e32 v8, v5
	v_mad_u64_u32 v[6:7], s[6:7], s7, v44, v[6:7]
	v_mov_b32_e32 v3, v6
	v_mad_u64_u32 v[6:7], s[6:7], s5, v47, v[8:9]
	v_mov_b32_e32 v5, v6
	v_lshl_add_u64 v[6:7], v[2:3], 3, v[0:1]
	v_lshl_add_u64 v[2:3], v[4:5], 3, v[6:7]
	v_mad_u64_u32 v[4:5], s[6:7], s4, 56, v[2:3]
	s_mul_i32 s6, s5, 56
	s_nop 0
	v_add_u32_e32 v5, s6, v5
	global_load_dwordx2 v[0:1], v[2:3], off
	s_mul_i32 s7, s5, 0x70
	global_load_dwordx2 v[2:3], v[4:5], off
	v_mad_u64_u32 v[4:5], s[10:11], s4, 56, v[4:5]
	v_add_u32_e32 v5, s6, v5
	v_mad_u64_u32 v[8:9], s[10:11], s4, 56, v[4:5]
	v_add_u32_e32 v9, s6, v9
	global_load_dwordx2 v[10:11], v45, s[8:9]
	global_load_dwordx2 v[12:13], v45, s[8:9] offset:56
	global_load_dwordx2 v[14:15], v45, s[8:9] offset:112
	;; [unrolled: 1-line block ×11, first 2 shown]
	global_load_dwordx2 v[38:39], v[4:5], off
	global_load_dwordx2 v[40:41], v[8:9], off
	v_mad_u64_u32 v[8:9], s[10:11], s4, 56, v[8:9]
	v_add_u32_e32 v9, s6, v9
	global_load_dwordx2 v[42:43], v[8:9], off
	v_mad_u64_u32 v[8:9], s[10:11], s4, 56, v[8:9]
	v_add_u32_e32 v9, s6, v9
	v_mad_u64_u32 v[4:5], s[10:11], s4, v46, 0
	global_load_dwordx2 v[50:51], v[8:9], off
	v_mad_u64_u32 v[8:9], s[10:11], s4, 56, v[8:9]
	v_mov_b32_e32 v16, v5
	v_add_u32_e32 v9, s6, v9
	global_load_dwordx2 v[52:53], v[8:9], off
	v_mad_u64_u32 v[8:9], s[10:11], s4, 56, v[8:9]
	v_mad_u64_u32 v[56:57], s[10:11], s5, v46, v[16:17]
	v_add_u32_e32 v9, s6, v9
	v_mov_b32_e32 v5, v56
	v_lshl_add_u64 v[4:5], v[4:5], 3, v[6:7]
	v_mad_u64_u32 v[6:7], s[10:11], s4, v37, v[8:9]
	v_add_u32_e32 v7, s7, v7
	global_load_dwordx2 v[54:55], v[8:9], off
	global_load_dwordx2 v[62:63], v45, s[8:9] offset:672
	v_lshlrev_b32_e32 v16, 3, v36
	global_load_dwordx2 v[8:9], v[6:7], off
	v_mad_u64_u32 v[6:7], s[10:11], s4, 56, v[6:7]
	v_add_u32_e32 v7, s6, v7
	global_load_dwordx2 v[56:57], v[6:7], off
	v_mad_u64_u32 v[6:7], s[10:11], s4, 56, v[6:7]
	v_add_u32_e32 v7, s6, v7
	;; [unrolled: 3-line block ×3, first 2 shown]
	global_load_dwordx2 v[4:5], v[4:5], off
	v_lshl_add_u32 v37, v48, 3, v45
	global_load_dwordx2 v[60:61], v[6:7], off
	v_mad_u64_u32 v[6:7], s[10:11], s4, 56, v[6:7]
	v_add_u32_e32 v7, s6, v7
	global_load_dwordx2 v[64:65], v[6:7], off
	global_load_dwordx2 v[66:67], v45, s[8:9] offset:728
	v_mad_u64_u32 v[6:7], s[10:11], s4, 56, v[6:7]
	v_add_u32_e32 v7, s6, v7
	global_load_dwordx2 v[68:69], v[6:7], off
	global_load_dwordx2 v[70:71], v45, s[8:9] offset:784
	;; [unrolled: 4-line block ×3, first 2 shown]
	s_waitcnt vmcnt(29)
	v_mul_f32_e32 v6, v0, v11
	v_fma_f32 v7, v1, v10, -v6
	v_mul_f32_e32 v6, v1, v11
	v_fmac_f32_e32 v6, v0, v10
	s_waitcnt vmcnt(28)
	v_mul_f32_e32 v0, v3, v13
	v_mul_f32_e32 v1, v2, v13
	v_fmac_f32_e32 v0, v2, v12
	v_fma_f32 v1, v3, v12, -v1
	ds_write_b64 v16, v[6:7]
	ds_write_b64 v17, v[0:1] offset:56
	s_waitcnt vmcnt(17)
	v_mul_f32_e32 v0, v39, v15
	v_mul_f32_e32 v1, v38, v15
	s_waitcnt vmcnt(16)
	v_mul_f32_e32 v2, v41, v19
	v_mul_f32_e32 v3, v40, v19
	v_fmac_f32_e32 v0, v38, v14
	v_fma_f32 v1, v39, v14, -v1
	v_fmac_f32_e32 v2, v40, v18
	v_fma_f32 v3, v41, v18, -v3
	ds_write2_b64 v37, v[0:1], v[2:3] offset0:14 offset1:21
	s_waitcnt vmcnt(15)
	v_mul_f32_e32 v0, v43, v21
	v_mul_f32_e32 v1, v42, v21
	s_waitcnt vmcnt(14)
	v_mul_f32_e32 v2, v51, v23
	v_mul_f32_e32 v3, v50, v23
	v_fmac_f32_e32 v0, v42, v20
	v_fma_f32 v1, v43, v20, -v1
	v_fmac_f32_e32 v2, v50, v22
	v_fma_f32 v3, v51, v22, -v3
	ds_write2_b64 v37, v[0:1], v[2:3] offset0:28 offset1:35
	s_waitcnt vmcnt(13)
	v_mul_f32_e32 v0, v53, v25
	v_mul_f32_e32 v1, v52, v25
	v_fmac_f32_e32 v0, v52, v24
	v_fma_f32 v1, v53, v24, -v1
	s_waitcnt vmcnt(12)
	v_mul_f32_e32 v2, v55, v27
	v_mul_f32_e32 v3, v54, v27
	v_fmac_f32_e32 v2, v54, v26
	v_fma_f32 v3, v55, v26, -v3
	ds_write2_b64 v37, v[0:1], v[2:3] offset0:42 offset1:49
	s_waitcnt vmcnt(10)
	v_mul_f32_e32 v2, v9, v31
	v_mul_f32_e32 v3, v8, v31
	v_fmac_f32_e32 v2, v8, v30
	v_fma_f32 v3, v9, v30, -v3
	s_waitcnt vmcnt(7)
	v_mul_f32_e32 v0, v5, v29
	v_mul_f32_e32 v1, v4, v29
	v_fmac_f32_e32 v0, v4, v28
	v_fma_f32 v1, v5, v28, -v1
	ds_write2_b64 v37, v[0:1], v[2:3] offset0:56 offset1:63
	v_mul_f32_e32 v0, v57, v33
	v_mul_f32_e32 v1, v56, v33
	v_mul_f32_e32 v2, v59, v35
	v_mul_f32_e32 v3, v58, v35
	v_fmac_f32_e32 v0, v56, v32
	v_fma_f32 v1, v57, v32, -v1
	v_fmac_f32_e32 v2, v58, v34
	v_fma_f32 v3, v59, v34, -v3
	ds_write2_b64 v37, v[0:1], v[2:3] offset0:70 offset1:77
	s_waitcnt vmcnt(6)
	v_mul_f32_e32 v0, v61, v63
	v_mul_f32_e32 v1, v60, v63
	s_waitcnt vmcnt(4)
	v_mul_f32_e32 v2, v65, v67
	v_mul_f32_e32 v3, v64, v67
	v_fmac_f32_e32 v0, v60, v62
	v_fma_f32 v1, v61, v62, -v1
	v_fmac_f32_e32 v2, v64, v66
	v_fma_f32 v3, v65, v66, -v3
	ds_write2_b64 v37, v[0:1], v[2:3] offset0:84 offset1:91
	s_waitcnt vmcnt(2)
	v_mul_f32_e32 v0, v69, v71
	v_mul_f32_e32 v1, v68, v71
	s_waitcnt vmcnt(0)
	v_mul_f32_e32 v2, v73, v75
	v_mul_f32_e32 v3, v72, v75
	v_fmac_f32_e32 v0, v68, v70
	v_fma_f32 v1, v69, v70, -v1
	v_fmac_f32_e32 v2, v72, v74
	v_fma_f32 v3, v73, v74, -v3
	ds_write2_b64 v37, v[0:1], v[2:3] offset0:98 offset1:105
.LBB0_3:
	s_or_b64 exec, exec, s[2:3]
	s_load_dwordx2 s[2:3], s[0:1], 0x20
	s_load_dwordx2 s[4:5], s[0:1], 0x8
	v_lshlrev_b32_e32 v49, 3, v48
	s_waitcnt lgkmcnt(0)
	s_barrier
	s_waitcnt lgkmcnt(0)
                                        ; implicit-def: $vgpr30
                                        ; implicit-def: $vgpr12
                                        ; implicit-def: $vgpr0
                                        ; implicit-def: $vgpr16
                                        ; implicit-def: $vgpr4
                                        ; implicit-def: $vgpr20
                                        ; implicit-def: $vgpr24
                                        ; implicit-def: $vgpr10
                                        ; implicit-def: $vgpr28
	s_and_saveexec_b64 s[0:1], vcc
	s_cbranch_execz .LBB0_5
; %bb.4:
	v_lshlrev_b32_e32 v16, 3, v36
	v_lshl_add_u32 v24, v47, 3, v49
	ds_read2_b64 v[0:3], v24 offset0:14 offset1:21
	ds_read2_b64 v[4:7], v24 offset0:28 offset1:35
	;; [unrolled: 1-line block ×4, first 2 shown]
	ds_read_b64 v[28:29], v17 offset:56
	ds_read_b64 v[30:31], v16
	ds_read2_b64 v[16:19], v24 offset0:70 offset1:77
	ds_read2_b64 v[20:23], v24 offset0:84 offset1:91
	ds_read2_b64 v[24:27], v24 offset0:98 offset1:105
.LBB0_5:
	s_or_b64 exec, exec, s[0:1]
	s_waitcnt lgkmcnt(2)
	v_pk_add_f32 v[16:17], v[0:1], v[16:17] neg_lo:[0,1] neg_hi:[0,1]
	v_pk_add_f32 v[12:13], v[30:31], v[12:13] neg_lo:[0,1] neg_hi:[0,1]
	v_fma_f32 v33, v0, 2.0, -v16
	v_fma_f32 v34, v1, 2.0, -v17
	s_waitcnt lgkmcnt(0)
	v_pk_add_f32 v[0:1], v[8:9], v[24:25] neg_lo:[0,1] neg_hi:[0,1]
	v_pk_add_f32 v[20:21], v[4:5], v[20:21] neg_lo:[0,1] neg_hi:[0,1]
	v_fma_f32 v8, v8, 2.0, -v0
	v_fma_f32 v9, v9, 2.0, -v1
	v_sub_f32_e32 v25, v33, v8
	v_sub_f32_e32 v32, v34, v9
	v_fma_f32 v38, v33, 2.0, -v25
	v_fma_f32 v41, v34, 2.0, -v32
	v_mov_b32_e32 v9, v20
	v_mov_b32_e32 v34, v21
	;; [unrolled: 1-line block ×6, first 2 shown]
	v_pk_add_f32 v[34:35], v[12:13], v[34:35] neg_lo:[0,1] neg_hi:[0,1]
	v_pk_add_f32 v[8:9], v[8:9], v[12:13]
	v_pk_add_f32 v[42:43], v[16:17], v[0:1] neg_lo:[0,1] neg_hi:[0,1]
	v_pk_add_f32 v[0:1], v[32:33], v[16:17]
	v_mov_b32_e32 v35, v9
	v_mov_b32_e32 v43, v1
	v_pk_fma_f32 v[8:9], v[12:13], 2.0, v[34:35] op_sel_hi:[1,0,1] neg_lo:[0,0,1] neg_hi:[0,0,1]
	v_pk_fma_f32 v[0:1], v[16:17], 2.0, v[42:43] op_sel_hi:[1,0,1] neg_lo:[0,0,1] neg_hi:[0,0,1]
	s_mov_b32 s0, 0x3f3504f3
	v_pk_mul_f32 v[16:17], v[0:1], s[0:1] op_sel_hi:[1,0]
	v_pk_fma_f32 v[50:51], v[0:1], s[0:1], v[8:9] op_sel_hi:[1,0,1] neg_lo:[1,0,0] neg_hi:[1,0,0]
	v_pk_fma_f32 v[12:13], v[30:31], 2.0, v[12:13] op_sel_hi:[1,0,1] neg_lo:[0,0,1] neg_hi:[0,0,1]
	v_pk_add_f32 v[0:1], v[50:51], v[16:17] op_sel:[0,1] op_sel_hi:[1,0] neg_lo:[0,1] neg_hi:[0,1]
	v_pk_add_f32 v[16:17], v[50:51], v[16:17] op_sel:[0,1] op_sel_hi:[1,0]
	v_pk_fma_f32 v[4:5], v[4:5], 2.0, v[20:21] op_sel_hi:[1,0,1] neg_lo:[0,0,1] neg_hi:[0,0,1]
	v_mov_b32_e32 v1, v17
	v_pk_add_f32 v[16:17], v[12:13], v[4:5] neg_lo:[0,1] neg_hi:[0,1]
	v_pk_fma_f32 v[20:21], v[42:43], s[0:1], v[34:35] op_sel_hi:[1,0,1]
	v_mov_b32_e32 v24, v16
	v_mov_b32_e32 v33, v17
	v_pk_add_f32 v[4:5], v[16:17], v[32:33] neg_lo:[0,1] neg_hi:[0,1]
	v_pk_add_f32 v[30:31], v[24:25], v[16:17]
	v_pk_fma_f32 v[12:13], v[12:13], 2.0, v[16:17] op_sel_hi:[1,0,1] neg_lo:[0,0,1] neg_hi:[0,0,1]
	v_mov_b32_e32 v5, v31
	v_pk_fma_f32 v[32:33], v[16:17], 2.0, v[4:5] op_sel_hi:[1,0,1] neg_lo:[0,0,1] neg_hi:[0,0,1]
	v_pk_mul_f32 v[16:17], v[42:43], s[0:1] op_sel_hi:[1,0]
	v_pk_add_f32 v[14:15], v[28:29], v[14:15] neg_lo:[0,1] neg_hi:[0,1]
	v_pk_add_f32 v[42:43], v[20:21], v[16:17] op_sel:[0,1] op_sel_hi:[1,0] neg_lo:[0,1] neg_hi:[0,1]
	v_pk_add_f32 v[16:17], v[20:21], v[16:17] op_sel:[0,1] op_sel_hi:[1,0]
	v_pk_add_f32 v[18:19], v[2:3], v[18:19] neg_lo:[0,1] neg_hi:[0,1]
	v_mov_b32_e32 v43, v17
	v_pk_add_f32 v[16:17], v[6:7], v[22:23] neg_lo:[0,1] neg_hi:[0,1]
	v_pk_add_f32 v[20:21], v[10:11], v[26:27] neg_lo:[0,1] neg_hi:[0,1]
	v_pk_add_f32 v[22:23], v[14:15], v[16:17] op_sel:[1,0] op_sel_hi:[0,1]
	v_pk_add_f32 v[24:25], v[14:15], v[16:17] op_sel:[1,0] op_sel_hi:[0,1] neg_lo:[0,1] neg_hi:[0,1]
	v_mov_b32_e32 v23, v25
	v_pk_add_f32 v[24:25], v[18:19], v[20:21] op_sel:[1,0] op_sel_hi:[0,1]
	v_pk_add_f32 v[26:27], v[18:19], v[20:21] op_sel:[1,0] op_sel_hi:[0,1] neg_lo:[0,1] neg_hi:[0,1]
	v_mov_b32_e32 v25, v27
	v_pk_fma_f32 v[26:27], v[14:15], 2.0, v[22:23] op_sel:[1,0,0] op_sel_hi:[0,0,1] neg_lo:[0,0,1] neg_hi:[0,0,1]
	v_pk_fma_f32 v[50:51], v[18:19], 2.0, v[24:25] op_sel:[1,0,0] op_sel_hi:[0,0,1] neg_lo:[0,0,1] neg_hi:[0,0,1]
	v_pk_mul_f32 v[52:53], v[50:51], s[0:1] op_sel_hi:[1,0]
	v_pk_fma_f32 v[50:51], v[50:51], s[0:1], v[26:27] op_sel_hi:[1,0,1] neg_lo:[1,0,0] neg_hi:[1,0,0]
	s_mov_b32 s6, 0x3f6c835e
	v_pk_add_f32 v[54:55], v[50:51], v[52:53] op_sel:[0,1] op_sel_hi:[1,0]
	v_pk_add_f32 v[50:51], v[50:51], v[52:53] op_sel:[0,1] op_sel_hi:[1,0] neg_lo:[0,1] neg_hi:[0,1]
	v_mov_b32_e32 v52, v2
	v_mov_b32_e32 v53, v28
	;; [unrolled: 1-line block ×12, first 2 shown]
	v_pk_fma_f32 v[6:7], v[52:53], 2.0, v[6:7] op_sel_hi:[1,0,1] neg_lo:[0,0,1] neg_hi:[0,0,1]
	v_pk_fma_f32 v[2:3], v[2:3], 2.0, v[18:19] op_sel_hi:[1,0,1] neg_lo:[0,0,1] neg_hi:[0,0,1]
	;; [unrolled: 1-line block ×4, first 2 shown]
	v_pk_add_f32 v[14:15], v[6:7], v[14:15] neg_lo:[0,1] neg_hi:[0,1]
	v_pk_add_f32 v[10:11], v[2:3], v[10:11] neg_lo:[0,1] neg_hi:[0,1]
	v_fma_f32 v39, v6, 2.0, -v14
	v_fma_f32 v40, v3, 2.0, -v11
	v_mov_b32_e32 v6, v7
	v_mov_b32_e32 v7, v2
	;; [unrolled: 1-line block ×4, first 2 shown]
	v_pk_fma_f32 v[16:17], v[6:7], 2.0, v[2:3] op_sel_hi:[1,0,1] neg_lo:[0,0,1] neg_hi:[0,0,1]
	v_pk_add_f32 v[18:19], v[14:15], v[10:11]
	v_pk_add_f32 v[2:3], v[14:15], v[10:11] neg_lo:[0,1] neg_hi:[0,1]
	v_pk_fma_f32 v[6:7], v[24:25], s[0:1], v[22:23] op_sel_hi:[1,0,1]
	v_mov_b32_e32 v19, v3
	v_fma_f32 v11, v15, 2.0, -v3
	v_pk_mul_f32 v[2:3], v[24:25], s[0:1] op_sel_hi:[1,0]
	v_mov_b32_e32 v50, v54
	v_pk_add_f32 v[28:29], v[6:7], v[2:3] op_sel:[0,1] op_sel_hi:[1,0]
	v_pk_add_f32 v[52:53], v[6:7], v[2:3] op_sel:[0,1] op_sel_hi:[1,0] neg_lo:[0,1] neg_hi:[0,1]
	v_mov_b32_e32 v2, v12
	v_mov_b32_e32 v3, v16
	v_pk_add_f32 v[38:39], v[2:3], v[38:39] neg_lo:[0,1] neg_hi:[0,1]
	v_mov_b32_e32 v2, v17
	v_mov_b32_e32 v3, v13
	v_pk_add_f32 v[40:41], v[2:3], v[40:41] neg_lo:[0,1] neg_hi:[0,1]
	v_pk_fma_f32 v[20:21], v[26:27], 2.0, v[50:51] op_sel_hi:[1,0,1] neg_lo:[0,0,1] neg_hi:[0,0,1]
	v_mov_b32_e32 v2, v38
	v_mov_b32_e32 v3, v41
	v_pk_fma_f32 v[8:9], v[8:9], 2.0, v[0:1] op_sel_hi:[1,0,1] neg_lo:[0,0,1] neg_hi:[0,0,1]
	v_pk_mul_f32 v[14:15], v[20:21], s[6:7] op_sel_hi:[1,0]
	v_pk_fma_f32 v[6:7], v[12:13], 2.0, v[2:3] op_sel_hi:[1,0,1] neg_lo:[0,0,1] neg_hi:[0,0,1]
	v_mov_b32_e32 v12, v39
	v_mov_b32_e32 v13, v40
	s_mov_b32 s10, 0x3ec3ef15
	v_pk_fma_f32 v[12:13], v[16:17], 2.0, v[12:13] op_sel_hi:[1,0,1] neg_lo:[0,0,1] neg_hi:[0,0,1]
	v_pk_add_f32 v[16:17], v[8:9], v[14:15] op_sel:[0,1] op_sel_hi:[1,0] neg_lo:[0,1] neg_hi:[0,1]
	v_fma_f32 v10, v10, 2.0, -v18
	v_mov_b32_e32 v52, v28
	v_pk_fma_f32 v[14:15], v[20:21], s[10:11], v[16:17] op_sel_hi:[1,0,1] neg_lo:[1,0,0] neg_hi:[1,0,0]
	v_pk_fma_f32 v[16:17], v[20:21], s[10:11], v[16:17] op_sel_hi:[1,0,1]
	v_pk_fma_f32 v[24:25], v[22:23], 2.0, v[52:53] op_sel_hi:[1,0,1] neg_lo:[0,0,1] neg_hi:[0,0,1]
	v_mov_b32_e32 v15, v17
	v_pk_fma_f32 v[16:17], v[10:11], s[0:1], v[32:33] op_sel:[0,0,1] op_sel_hi:[1,0,0] neg_lo:[1,0,0] neg_hi:[1,0,0]
	v_pk_fma_f32 v[34:35], v[34:35], 2.0, v[42:43] op_sel_hi:[1,0,1] neg_lo:[0,0,1] neg_hi:[0,0,1]
	v_pk_mul_f32 v[22:23], v[24:25], s[10:11] op_sel_hi:[1,0]
	v_pk_fma_f32 v[20:21], v[10:11], s[0:1], v[16:17] op_sel:[0,0,1] op_sel_hi:[1,0,0] neg_lo:[1,0,0] neg_hi:[1,0,0]
	v_pk_fma_f32 v[10:11], v[10:11], s[0:1], v[16:17] op_sel:[0,0,1] op_sel_hi:[1,0,0]
	v_pk_mul_f32 v[26:27], v[50:51], s[10:11] op_sel_hi:[1,0]
	v_mov_b32_e32 v21, v11
	v_pk_add_f32 v[10:11], v[34:35], v[22:23] op_sel:[0,1] op_sel_hi:[1,0] neg_lo:[0,1] neg_hi:[0,1]
	v_pk_mul_f32 v[56:57], v[52:53], s[6:7] op_sel_hi:[1,0]
	v_pk_fma_f32 v[22:23], v[24:25], s[6:7], v[10:11] op_sel_hi:[1,0,1] neg_lo:[1,0,0] neg_hi:[1,0,0]
	v_pk_fma_f32 v[10:11], v[24:25], s[6:7], v[10:11] op_sel_hi:[1,0,1]
	v_pk_add_f32 v[24:25], v[38:39], v[40:41] neg_lo:[0,1] neg_hi:[0,1]
	v_mov_b32_e32 v23, v11
	v_pk_add_f32 v[10:11], v[38:39], v[40:41]
	v_pk_add_f32 v[12:13], v[6:7], v[12:13] neg_lo:[0,1] neg_hi:[0,1]
	v_mov_b32_e32 v25, v11
	v_pk_add_f32 v[10:11], v[26:27], v[0:1] op_sel:[1,0] op_sel_hi:[0,1]
	v_pk_fma_f32 v[26:27], v[54:55], s[6:7], v[10:11] op_sel_hi:[1,0,1] neg_lo:[1,0,0] neg_hi:[1,0,0]
	v_pk_fma_f32 v[10:11], v[50:51], s[6:7], v[10:11] op_sel_hi:[1,0,1]
	v_lshlrev_b32_e32 v51, 4, v47
	v_mov_b32_e32 v27, v11
	v_mov_b32_e32 v10, v31
	;; [unrolled: 1-line block ×3, first 2 shown]
	v_pk_fma_f32 v[10:11], v[18:19], s[0:1], v[10:11] op_sel_hi:[1,0,1]
	s_nop 0
	v_pk_fma_f32 v[16:17], v[18:19], s[0:1], v[10:11] op_sel:[0,0,1] op_sel_hi:[1,0,0] neg_lo:[1,0,0] neg_hi:[1,0,0]
	v_pk_fma_f32 v[10:11], v[18:19], s[0:1], v[10:11] op_sel:[0,0,1] op_sel_hi:[1,0,0]
	s_barrier
	v_mov_b32_e32 v17, v11
	v_pk_add_f32 v[10:11], v[56:57], v[42:43] op_sel:[1,0] op_sel_hi:[0,1]
	v_pk_fma_f32 v[18:19], v[28:29], s[10:11], v[10:11] op_sel_hi:[1,0,1] neg_lo:[1,0,0] neg_hi:[1,0,0]
	v_pk_fma_f32 v[10:11], v[52:53], s[10:11], v[10:11] op_sel_hi:[1,0,1]
	s_nop 0
	v_mov_b32_e32 v19, v11
	v_pk_fma_f32 v[30:31], v[42:43], 2.0, v[18:19] op_sel_hi:[1,0,1] neg_lo:[0,0,1] neg_hi:[0,0,1]
	s_and_saveexec_b64 s[0:1], vcc
	s_cbranch_execz .LBB0_7
; %bb.6:
	v_add_lshl_u32 v10, v48, v51, 3
	v_pk_fma_f32 v[6:7], v[6:7], 2.0, v[12:13] op_sel_hi:[1,0,1] neg_lo:[0,0,1] neg_hi:[0,0,1]
	v_pk_fma_f32 v[8:9], v[8:9], 2.0, v[14:15] op_sel_hi:[1,0,1] neg_lo:[0,0,1] neg_hi:[0,0,1]
	ds_write_b128 v10, v[6:9]
	v_pk_fma_f32 v[6:7], v[32:33], 2.0, v[20:21] op_sel_hi:[1,0,1] neg_lo:[0,0,1] neg_hi:[0,0,1]
	v_pk_fma_f32 v[8:9], v[34:35], 2.0, v[22:23] op_sel_hi:[1,0,1] neg_lo:[0,0,1] neg_hi:[0,0,1]
	ds_write_b128 v10, v[6:9] offset:16
	v_pk_fma_f32 v[6:7], v[2:3], 2.0, v[24:25] op_sel_hi:[1,0,1] neg_lo:[0,0,1] neg_hi:[0,0,1]
	v_pk_fma_f32 v[8:9], v[0:1], 2.0, v[26:27] op_sel_hi:[1,0,1] neg_lo:[0,0,1] neg_hi:[0,0,1]
	;; [unrolled: 1-line block ×3, first 2 shown]
	ds_write_b128 v10, v[6:9] offset:32
	ds_write_b128 v10, v[28:31] offset:48
	;; [unrolled: 1-line block ×6, first 2 shown]
.LBB0_7:
	s_or_b64 exec, exec, s[0:1]
	v_mul_u32_u24_e32 v0, 6, v47
	v_lshlrev_b32_e32 v28, 3, v0
	s_load_dwordx4 s[0:3], s[2:3], 0x0
	s_waitcnt lgkmcnt(0)
	s_barrier
	global_load_dwordx4 v[8:11], v28, s[4:5] offset:16
	global_load_dwordx4 v[4:7], v28, s[4:5]
	global_load_dwordx4 v[0:3], v28, s[4:5] offset:32
	v_lshlrev_b32_e32 v50, 3, v36
	ds_read2_b64 v[32:35], v50 offset0:32 offset1:48
	ds_read2_b64 v[36:39], v50 offset0:64 offset1:80
	ds_read2_b64 v[40:43], v50 offset1:16
	ds_read_b64 v[28:29], v50 offset:768
	s_mov_b32 s10, 0x3f5ff5aa
	s_mov_b32 s14, 0x3f4a47b2
	;; [unrolled: 1-line block ×7, first 2 shown]
	v_lshl_add_u32 v49, v47, 3, v49
	s_waitcnt vmcnt(2) lgkmcnt(3)
	v_pk_mul_f32 v[52:53], v[34:35], v[8:9] op_sel_hi:[1,0]
	s_waitcnt lgkmcnt(2)
	v_pk_mul_f32 v[54:55], v[36:37], v[10:11] op_sel_hi:[1,0]
	v_mov_b32_e32 v56, v11
	s_waitcnt vmcnt(1) lgkmcnt(1)
	v_pk_mul_f32 v[58:59], v[42:43], v[4:5] op_sel_hi:[1,0]
	v_pk_mul_f32 v[60:61], v[32:33], v[6:7] op_sel_hi:[1,0]
	v_mov_b32_e32 v62, v7
	s_waitcnt vmcnt(0)
	v_pk_mul_f32 v[64:65], v[38:39], v[0:1] op_sel_hi:[1,0]
	s_waitcnt lgkmcnt(0)
	v_pk_mul_f32 v[66:67], v[28:29], v[2:3] op_sel_hi:[1,0]
	v_mov_b32_e32 v68, v3
	v_pk_fma_f32 v[70:71], v[34:35], v[8:9], v[52:53] op_sel:[0,1,1] op_sel_hi:[1,1,0]
	v_pk_fma_f32 v[34:35], v[34:35], v[8:9], v[52:53] op_sel:[0,1,1] op_sel_hi:[1,1,0] neg_lo:[1,0,0] neg_hi:[1,0,0]
	v_pk_fma_f32 v[52:53], v[36:37], v[56:57], v[54:55] op_sel:[0,0,1] op_sel_hi:[1,0,0]
	v_pk_fma_f32 v[36:37], v[36:37], v[56:57], v[54:55] op_sel:[0,0,1] op_sel_hi:[1,0,0] neg_lo:[1,0,0] neg_hi:[1,0,0]
	;; [unrolled: 2-line block ×6, first 2 shown]
	v_mov_b32_e32 v55, v43
	v_mov_b32_e32 v57, v33
	;; [unrolled: 1-line block ×6, first 2 shown]
	v_pk_add_f32 v[36:37], v[54:55], v[60:61]
	v_pk_add_f32 v[38:39], v[56:57], v[58:59]
	v_pk_add_f32 v[28:29], v[54:55], v[60:61] neg_lo:[0,1] neg_hi:[0,1]
	v_pk_add_f32 v[32:33], v[56:57], v[58:59] neg_lo:[0,1] neg_hi:[0,1]
	;; [unrolled: 1-line block ×3, first 2 shown]
	v_pk_add_f32 v[42:43], v[70:71], v[52:53]
	v_pk_add_f32 v[58:59], v[38:39], v[36:37]
	v_pk_add_f32 v[52:53], v[28:29], v[34:35] neg_lo:[0,1] neg_hi:[0,1]
	v_pk_add_f32 v[54:55], v[32:33], v[28:29] neg_lo:[0,1] neg_hi:[0,1]
	v_pk_add_f32 v[56:57], v[34:35], v[32:33]
	v_pk_add_f32 v[60:61], v[38:39], v[36:37] neg_lo:[0,1] neg_hi:[0,1]
	v_pk_add_f32 v[36:37], v[36:37], v[42:43] neg_lo:[0,1] neg_hi:[0,1]
	;; [unrolled: 1-line block ×4, first 2 shown]
	v_mov_b32_e32 v35, v42
	v_mov_b32_e32 v42, v43
	;; [unrolled: 1-line block ×4, first 2 shown]
	v_pk_add_f32 v[56:57], v[56:57], v[28:29]
	v_pk_mul_f32 v[28:29], v[54:55], s[10:11] op_sel_hi:[1,0]
	v_pk_mul_f32 v[36:37], v[36:37], s[14:15] op_sel_hi:[1,0]
	v_pk_mul_f32 v[62:63], v[38:39], s[18:19] op_sel_hi:[1,0]
	v_pk_mul_f32 v[32:33], v[32:33], s[20:21] op_sel_hi:[1,0]
	v_pk_add_f32 v[34:35], v[34:35], v[42:43]
	v_pk_fma_f32 v[38:39], v[38:39], s[18:19], v[36:37] op_sel_hi:[1,0,1]
	v_pk_fma_f32 v[58:59], v[60:61], s[16:17], v[62:63] op_sel_hi:[1,0,1] neg_lo:[0,0,1] neg_hi:[0,0,1]
	v_pk_fma_f32 v[36:37], v[60:61], s[16:17], v[36:37] op_sel_hi:[1,0,1] neg_lo:[1,0,1] neg_hi:[1,0,1]
	v_pk_fma_f32 v[60:61], v[52:53], s[6:7], v[32:33] op_sel_hi:[1,0,1]
	v_pk_fma_f32 v[52:53], v[52:53], s[6:7], v[28:29] op_sel_hi:[1,0,1] neg_lo:[1,0,1] neg_hi:[1,0,1]
	v_pk_add_f32 v[28:29], v[40:41], v[34:35]
	v_pk_fma_f32 v[32:33], v[54:55], s[10:11], v[32:33] op_sel_hi:[1,0,1] neg_lo:[0,0,1] neg_hi:[0,0,1]
	v_fmamk_f32 v34, v34, 0xbf955555, v28
	v_fmamk_f32 v35, v35, 0xbf955555, v29
	v_pk_fma_f32 v[40:41], v[56:57], s[4:5], v[60:61] op_sel_hi:[1,0,1]
	v_pk_fma_f32 v[42:43], v[56:57], s[4:5], v[32:33] op_sel_hi:[1,0,1]
	;; [unrolled: 1-line block ×3, first 2 shown]
	v_pk_add_f32 v[38:39], v[38:39], v[34:35] op_sel:[1,0] op_sel_hi:[0,1]
	v_pk_add_f32 v[52:53], v[58:59], v[34:35] op_sel:[1,0] op_sel_hi:[0,1]
	;; [unrolled: 1-line block ×3, first 2 shown]
	v_pk_add_f32 v[54:55], v[38:39], v[40:41]
	v_pk_add_f32 v[34:35], v[38:39], v[40:41] neg_lo:[0,1] neg_hi:[0,1]
	v_pk_add_f32 v[56:57], v[36:37], v[32:33]
	v_pk_add_f32 v[32:33], v[36:37], v[32:33] neg_lo:[0,1] neg_hi:[0,1]
	v_pk_add_f32 v[58:59], v[52:53], v[42:43] neg_lo:[0,1] neg_hi:[0,1]
	v_pk_add_f32 v[42:43], v[52:53], v[42:43]
	v_mov_b32_e32 v36, v54
	v_mov_b32_e32 v37, v35
	;; [unrolled: 1-line block ×9, first 2 shown]
	ds_write_b64 v50, v[28:29]
	ds_write2_b64 v49, v[36:37], v[38:39] offset0:16 offset1:32
	ds_write2_b64 v49, v[40:41], v[42:43] offset0:48 offset1:64
	ds_write2_b64 v49, v[32:33], v[34:35] offset0:80 offset1:96
	s_waitcnt lgkmcnt(0)
	s_barrier
	s_and_saveexec_b64 s[4:5], vcc
	s_cbranch_execz .LBB0_9
; %bb.8:
	global_load_dwordx2 v[52:53], v45, s[8:9] offset:896
	s_add_u32 s6, s8, 0x380
	s_addc_u32 s7, s9, 0
	global_load_dwordx2 v[80:81], v45, s[6:7] offset:56
	global_load_dwordx2 v[82:83], v45, s[6:7] offset:112
	;; [unrolled: 1-line block ×15, first 2 shown]
	ds_read_b64 v[54:55], v50
	s_waitcnt vmcnt(15) lgkmcnt(0)
	v_mul_f32_e32 v56, v55, v53
	v_mul_f32_e32 v57, v54, v53
	v_fma_f32 v56, v54, v52, -v56
	v_fmac_f32_e32 v57, v55, v52
	ds_write_b64 v50, v[56:57]
	ds_read2_b64 v[52:55], v49 offset0:7 offset1:14
	ds_read2_b64 v[56:59], v49 offset0:21 offset1:28
	;; [unrolled: 1-line block ×7, first 2 shown]
	ds_read_b64 v[110:111], v49 offset:840
	s_waitcnt vmcnt(14) lgkmcnt(7)
	v_mul_f32_e32 v113, v52, v81
	v_mul_f32_e32 v112, v53, v81
	s_waitcnt vmcnt(13)
	v_mul_f32_e32 v114, v55, v83
	v_mul_f32_e32 v81, v54, v83
	s_waitcnt vmcnt(12) lgkmcnt(6)
	v_mul_f32_e32 v115, v57, v85
	v_mul_f32_e32 v83, v56, v85
	s_waitcnt vmcnt(11)
	v_mul_f32_e32 v116, v59, v87
	v_mul_f32_e32 v85, v58, v87
	;; [unrolled: 6-line block ×6, first 2 shown]
	s_waitcnt vmcnt(2) lgkmcnt(1)
	v_mul_f32_e32 v125, v77, v105
	v_mul_f32_e32 v103, v76, v105
	s_waitcnt vmcnt(1)
	v_mul_f32_e32 v105, v79, v107
	v_fmac_f32_e32 v113, v53, v80
	v_mul_f32_e32 v53, v78, v107
	v_fma_f32 v112, v52, v80, -v112
	v_fma_f32 v80, v54, v82, -v114
	v_fmac_f32_e32 v81, v55, v82
	v_fma_f32 v82, v56, v84, -v115
	v_fmac_f32_e32 v83, v57, v84
	;; [unrolled: 2-line block ×13, first 2 shown]
	ds_write2_b64 v49, v[112:113], v[80:81] offset0:7 offset1:14
	ds_write2_b64 v49, v[82:83], v[84:85] offset0:21 offset1:28
	;; [unrolled: 1-line block ×7, first 2 shown]
	s_waitcnt vmcnt(0) lgkmcnt(7)
	v_mul_f32_e32 v52, v111, v109
	v_mul_f32_e32 v53, v110, v109
	v_fma_f32 v52, v110, v108, -v52
	v_fmac_f32_e32 v53, v111, v108
	ds_write_b64 v49, v[52:53] offset:840
.LBB0_9:
	s_or_b64 exec, exec, s[4:5]
	s_waitcnt lgkmcnt(0)
	s_barrier
	s_and_saveexec_b64 s[4:5], vcc
	s_cbranch_execz .LBB0_11
; %bb.10:
	ds_read2_b64 v[36:39], v49 offset0:7 offset1:14
	ds_read2_b64 v[40:43], v49 offset0:21 offset1:28
	;; [unrolled: 1-line block ×7, first 2 shown]
	ds_read_b64 v[28:29], v50
	ds_read_b64 v[18:19], v49 offset:840
	s_waitcnt lgkmcnt(5)
	v_mov_b64_e32 v[12:13], v[16:17]
	v_mov_b64_e32 v[30:31], v[14:15]
	s_waitcnt lgkmcnt(4)
	v_mov_b32_e32 v20, v54
	v_mov_b32_e32 v21, v55
	s_waitcnt lgkmcnt(2)
	v_mov_b32_e32 v16, v58
	v_mov_b32_e32 v17, v59
	;; [unrolled: 1-line block ×6, first 2 shown]
.LBB0_11:
	s_or_b64 exec, exec, s[4:5]
	s_waitcnt lgkmcnt(0)
	s_barrier
	s_and_saveexec_b64 s[4:5], vcc
	s_cbranch_execz .LBB0_13
; %bb.12:
	v_pk_add_f32 v[20:21], v[38:39], v[20:21] neg_lo:[0,1] neg_hi:[0,1]
	v_pk_add_f32 v[52:53], v[34:35], v[16:17] neg_lo:[0,1] neg_hi:[0,1]
	;; [unrolled: 1-line block ×4, first 2 shown]
	v_pk_fma_f32 v[12:13], v[38:39], 2.0, v[20:21] op_sel_hi:[1,0,1] neg_lo:[0,0,1] neg_hi:[0,0,1]
	v_pk_fma_f32 v[16:17], v[34:35], 2.0, v[52:53] op_sel_hi:[1,0,1] neg_lo:[0,0,1] neg_hi:[0,0,1]
	v_pk_add_f32 v[22:23], v[40:41], v[22:23] neg_lo:[0,1] neg_hi:[0,1]
	v_pk_add_f32 v[18:19], v[30:31], v[18:19] neg_lo:[0,1] neg_hi:[0,1]
	;; [unrolled: 1-line block ×5, first 2 shown]
	v_pk_fma_f32 v[16:17], v[28:29], 2.0, v[54:55] op_sel_hi:[1,0,1] neg_lo:[0,0,1] neg_hi:[0,0,1]
	v_pk_fma_f32 v[28:29], v[42:43], 2.0, v[24:25] op_sel_hi:[1,0,1] neg_lo:[0,0,1] neg_hi:[0,0,1]
	;; [unrolled: 1-line block ×3, first 2 shown]
	v_pk_add_f32 v[38:39], v[16:17], v[28:29] neg_lo:[0,1] neg_hi:[0,1]
	v_pk_fma_f32 v[28:29], v[40:41], 2.0, v[22:23] op_sel_hi:[1,0,1] neg_lo:[0,0,1] neg_hi:[0,0,1]
	v_pk_fma_f32 v[36:37], v[36:37], 2.0, v[14:15] op_sel_hi:[1,0,1] neg_lo:[0,0,1] neg_hi:[0,0,1]
	;; [unrolled: 1-line block ×3, first 2 shown]
	v_pk_add_f32 v[30:31], v[28:29], v[30:31] neg_lo:[0,1] neg_hi:[0,1]
	v_pk_add_f32 v[32:33], v[36:37], v[32:33] neg_lo:[0,1] neg_hi:[0,1]
	v_pk_fma_f32 v[16:17], v[16:17], 2.0, v[38:39] op_sel_hi:[1,0,1] neg_lo:[0,0,1] neg_hi:[0,0,1]
	v_pk_fma_f32 v[12:13], v[12:13], 2.0, v[34:35] op_sel_hi:[1,0,1] neg_lo:[0,0,1] neg_hi:[0,0,1]
	;; [unrolled: 1-line block ×3, first 2 shown]
	v_pk_add_f32 v[40:41], v[16:17], v[12:13] neg_lo:[0,1] neg_hi:[0,1]
	v_pk_fma_f32 v[12:13], v[36:37], 2.0, v[32:33] op_sel_hi:[1,0,1] neg_lo:[0,0,1] neg_hi:[0,0,1]
	v_pk_add_f32 v[42:43], v[20:21], v[52:53] op_sel:[0,1] op_sel_hi:[1,0]
	v_pk_add_f32 v[36:37], v[12:13], v[28:29] neg_lo:[0,1] neg_hi:[0,1]
	v_pk_add_f32 v[28:29], v[20:21], v[52:53] op_sel:[0,1] op_sel_hi:[1,0] neg_lo:[0,1] neg_hi:[0,1]
	v_pk_add_f32 v[52:53], v[54:55], v[24:25] op_sel:[0,1] op_sel_hi:[1,0]
	v_pk_add_f32 v[24:25], v[54:55], v[24:25] op_sel:[0,1] op_sel_hi:[1,0] neg_lo:[0,1] neg_hi:[0,1]
	v_pk_add_f32 v[56:57], v[22:23], v[18:19] op_sel:[0,1] op_sel_hi:[1,0]
	v_pk_add_f32 v[18:19], v[22:23], v[18:19] op_sel:[0,1] op_sel_hi:[1,0] neg_lo:[0,1] neg_hi:[0,1]
	v_mov_b32_e32 v43, v29
	v_mov_b32_e32 v53, v25
	v_mov_b32_e32 v57, v19
	v_pk_add_f32 v[58:59], v[14:15], v[26:27] op_sel:[0,1] op_sel_hi:[1,0]
	v_pk_add_f32 v[18:19], v[14:15], v[26:27] op_sel:[0,1] op_sel_hi:[1,0] neg_lo:[0,1] neg_hi:[0,1]
	s_mov_b32 s6, 0x3f3504f3
	v_mov_b32_e32 v59, v19
	v_pk_fma_f32 v[18:19], v[20:21], 2.0, v[42:43] op_sel_hi:[1,0,1] neg_lo:[0,0,1] neg_hi:[0,0,1]
	v_pk_fma_f32 v[26:27], v[54:55], 2.0, v[52:53] op_sel_hi:[1,0,1] neg_lo:[0,0,1] neg_hi:[0,0,1]
	v_pk_mul_f32 v[20:21], v[18:19], s[6:7] op_sel_hi:[1,0]
	v_pk_fma_f32 v[18:19], v[18:19], s[6:7], v[26:27] op_sel_hi:[1,0,1] neg_lo:[1,0,0] neg_hi:[1,0,0]
	v_pk_fma_f32 v[14:15], v[14:15], 2.0, v[58:59] op_sel_hi:[1,0,1] neg_lo:[0,0,1] neg_hi:[0,0,1]
	v_pk_add_f32 v[54:55], v[18:19], v[20:21] op_sel:[0,1] op_sel_hi:[1,0]
	v_pk_add_f32 v[24:25], v[18:19], v[20:21] op_sel:[0,1] op_sel_hi:[1,0] neg_lo:[0,1] neg_hi:[0,1]
	v_pk_fma_f32 v[18:19], v[22:23], 2.0, v[56:57] op_sel_hi:[1,0,1] neg_lo:[0,0,1] neg_hi:[0,0,1]
	v_mov_b32_e32 v55, v25
	v_pk_mul_f32 v[20:21], v[18:19], s[6:7] op_sel_hi:[1,0]
	v_pk_fma_f32 v[18:19], v[18:19], s[6:7], v[14:15] op_sel_hi:[1,0,1] neg_lo:[1,0,0] neg_hi:[1,0,0]
	s_mov_b32 s14, 0x3ec3ef15
	v_pk_add_f32 v[60:61], v[18:19], v[20:21] op_sel:[0,1] op_sel_hi:[1,0]
	v_pk_add_f32 v[28:29], v[18:19], v[20:21] op_sel:[0,1] op_sel_hi:[1,0] neg_lo:[0,1] neg_hi:[0,1]
	v_fmamk_f32 v24, v60, 0x3ec3ef15, v54
	v_mov_b32_e32 v61, v29
	s_mov_b32 s10, 0x3f6c835e
	v_pk_fma_f32 v[14:15], v[14:15], 2.0, v[60:61] op_sel_hi:[1,0,1] neg_lo:[0,0,1] neg_hi:[0,0,1]
	v_pk_fma_f32 v[18:19], v[26:27], 2.0, v[54:55] op_sel_hi:[1,0,1] neg_lo:[0,0,1] neg_hi:[0,0,1]
	v_fmac_f32_e32 v24, 0x3f6c835e, v29
	v_pk_mul_f32 v[20:21], v[14:15], s[14:15] op_sel_hi:[1,0]
	v_pk_fma_f32 v[22:23], v[14:15], s[10:11], v[18:19] op_sel_hi:[1,0,1] neg_lo:[1,0,0] neg_hi:[1,0,0]
	v_pk_fma_f32 v[16:17], v[16:17], 2.0, v[40:41] op_sel_hi:[1,0,1] neg_lo:[0,0,1] neg_hi:[0,0,1]
	v_pk_fma_f32 v[12:13], v[12:13], 2.0, v[36:37] op_sel_hi:[1,0,1] neg_lo:[0,0,1] neg_hi:[0,0,1]
	v_fma_f32 v28, v54, 2.0, -v24
	v_pk_add_f32 v[14:15], v[22:23], v[20:21] op_sel:[0,1] op_sel_hi:[1,0]
	v_pk_add_f32 v[54:55], v[22:23], v[20:21] op_sel:[0,1] op_sel_hi:[1,0] neg_lo:[0,1] neg_hi:[0,1]
	v_pk_add_f32 v[12:13], v[16:17], v[12:13] neg_lo:[0,1] neg_hi:[0,1]
	v_mov_b32_e32 v15, v55
	v_pk_add_f32 v[62:63], v[38:39], v[34:35] op_sel:[0,1] op_sel_hi:[1,0]
	v_pk_add_f32 v[34:35], v[38:39], v[34:35] op_sel:[0,1] op_sel_hi:[1,0] neg_lo:[0,1] neg_hi:[0,1]
	v_pk_add_f32 v[64:65], v[32:33], v[30:31] op_sel:[0,1] op_sel_hi:[1,0]
	v_pk_add_f32 v[30:31], v[32:33], v[30:31] op_sel:[0,1] op_sel_hi:[1,0] neg_lo:[0,1] neg_hi:[0,1]
	v_add_lshl_u32 v48, v48, v51, 3
	v_pk_fma_f32 v[16:17], v[16:17], 2.0, v[12:13] op_sel_hi:[1,0,1] neg_lo:[0,0,1] neg_hi:[0,0,1]
	v_pk_fma_f32 v[18:19], v[18:19], 2.0, v[14:15] op_sel_hi:[1,0,1] neg_lo:[0,0,1] neg_hi:[0,0,1]
	v_mov_b32_e32 v63, v35
	v_mov_b32_e32 v65, v31
	ds_write_b128 v48, v[16:19]
	v_pk_fma_f32 v[16:17], v[32:33], 2.0, v[64:65] op_sel_hi:[1,0,1] neg_lo:[0,0,1] neg_hi:[0,0,1]
	v_pk_fma_f32 v[20:21], v[38:39], 2.0, v[62:63] op_sel_hi:[1,0,1] neg_lo:[0,0,1] neg_hi:[0,0,1]
	v_pk_mul_f32 v[18:19], v[16:17], s[6:7] op_sel_hi:[1,0]
	v_pk_fma_f32 v[22:23], v[16:17], s[6:7], v[20:21] op_sel_hi:[1,0,1] neg_lo:[1,0,0] neg_hi:[1,0,0]
	v_pk_fma_f32 v[26:27], v[56:57], s[6:7], v[58:59] op_sel_hi:[1,0,1]
	v_pk_add_f32 v[16:17], v[22:23], v[18:19] op_sel:[0,1] op_sel_hi:[1,0]
	v_pk_add_f32 v[32:33], v[22:23], v[18:19] op_sel:[0,1] op_sel_hi:[1,0] neg_lo:[0,1] neg_hi:[0,1]
	v_pk_mul_f32 v[18:19], v[42:43], s[6:7] op_sel_hi:[1,0]
	v_pk_fma_f32 v[22:23], v[42:43], s[6:7], v[52:53] op_sel_hi:[1,0,1]
	v_mov_b32_e32 v17, v33
	v_pk_add_f32 v[38:39], v[22:23], v[18:19] op_sel:[0,1] op_sel_hi:[1,0]
	v_pk_add_f32 v[18:19], v[22:23], v[18:19] op_sel:[0,1] op_sel_hi:[1,0] neg_lo:[0,1] neg_hi:[0,1]
	v_pk_mul_f32 v[22:23], v[56:57], s[6:7] op_sel_hi:[1,0]
	v_mov_b32_e32 v39, v19
	v_pk_add_f32 v[42:43], v[26:27], v[22:23] op_sel:[0,1] op_sel_hi:[1,0]
	v_pk_add_f32 v[22:23], v[26:27], v[22:23] op_sel:[0,1] op_sel_hi:[1,0] neg_lo:[0,1] neg_hi:[0,1]
	v_fmamk_f32 v57, v42, 0x3f6c835e, v38
	v_fmamk_f32 v15, v23, 0x3f6c835e, v19
	v_mov_b32_e32 v43, v23
	v_fmamk_f32 v32, v42, 0xbec3ef15, v15
	v_fma_f32 v34, v19, 2.0, -v32
	v_fmac_f32_e32 v57, 0x3ec3ef15, v23
	v_pk_fma_f32 v[18:19], v[58:59], 2.0, v[42:43] op_sel_hi:[1,0,1] neg_lo:[0,0,1] neg_hi:[0,0,1]
	v_pk_fma_f32 v[22:23], v[52:53], 2.0, v[38:39] op_sel_hi:[1,0,1] neg_lo:[0,0,1] neg_hi:[0,0,1]
	v_pk_mul_f32 v[26:27], v[18:19], s[10:11] op_sel_hi:[1,0]
	v_pk_fma_f32 v[42:43], v[18:19], s[14:15], v[22:23] op_sel_hi:[1,0,1] neg_lo:[1,0,0] neg_hi:[1,0,0]
	v_pk_fma_f32 v[20:21], v[20:21], 2.0, v[16:17] op_sel_hi:[1,0,1] neg_lo:[0,0,1] neg_hi:[0,0,1]
	v_pk_add_f32 v[18:19], v[42:43], v[26:27] op_sel:[0,1] op_sel_hi:[1,0]
	v_pk_add_f32 v[42:43], v[42:43], v[26:27] op_sel:[0,1] op_sel_hi:[1,0] neg_lo:[0,1] neg_hi:[0,1]
	s_mov_b32 s15, s6
	v_mov_b32_e32 v19, v43
	v_pk_fma_f32 v[22:23], v[22:23], 2.0, v[18:19] op_sel_hi:[1,0,1] neg_lo:[0,0,1] neg_hi:[0,0,1]
	ds_write_b128 v48, v[20:23] offset:16
	v_pk_add_f32 v[22:23], v[40:41], v[36:37] op_sel:[0,1] op_sel_hi:[1,0]
	v_pk_add_f32 v[20:21], v[40:41], v[36:37] op_sel:[0,1] op_sel_hi:[1,0] neg_lo:[0,1] neg_hi:[0,1]
	v_mov_b32_e32 v61, v31
	v_mov_b32_e32 v23, v21
	v_pk_fma_f32 v[26:27], v[40:41], 2.0, v[22:23] op_sel_hi:[1,0,1] neg_lo:[0,0,1] neg_hi:[0,0,1]
	ds_write_b96 v48, v[26:28] offset:32
	v_mov_b32_e32 v26, v29
	v_mov_b32_e32 v27, v64
	;; [unrolled: 1-line block ×4, first 2 shown]
	s_mov_b32 s11, s6
	v_pk_fma_f32 v[26:27], v[26:27], s[14:15], v[28:29]
	v_fmamk_f32 v15, v31, 0x3f3504f3, v35
	v_pk_fma_f32 v[30:31], v[60:61], s[10:11], v[26:27] neg_lo:[1,0,0] neg_hi:[1,0,0]
	v_pk_fma_f32 v[26:27], v[60:61], s[10:11], v[26:27]
	v_fmamk_f32 v56, v64, 0xbf3504f3, v15
	v_mov_b32_e32 v31, v27
	v_pk_fma_f32 v[26:27], v[28:29], 2.0, v[30:31] op_sel_hi:[1,0,1] neg_lo:[0,0,1] neg_hi:[0,0,1]
	ds_write2_b32 v48, v26, v27 offset0:11 offset1:12
	v_mov_b32_e32 v26, v35
	v_mov_b32_e32 v27, v38
	v_pk_fma_f32 v[26:27], v[26:27], 2.0, v[56:57] op_sel_hi:[1,0,1] neg_lo:[0,0,1] neg_hi:[0,0,1]
	v_mov_b32_e32 v15, v55
	ds_write2_b32 v48, v26, v27 offset0:13 offset1:14
	ds_write_b128 v48, v[12:15] offset:64
	ds_write_b128 v48, v[16:19] offset:80
	ds_write_b96 v48, v[22:24] offset:96
	ds_write2_b32 v48, v30, v31 offset0:27 offset1:28
	ds_write2_b32 v48, v56, v57 offset0:29 offset1:30
	;; [unrolled: 1-line block ×3, first 2 shown]
.LBB0_13:
	s_or_b64 exec, exec, s[4:5]
	s_waitcnt lgkmcnt(0)
	s_barrier
	ds_read2_b64 v[12:15], v50 offset0:32 offset1:48
	ds_read2_b64 v[16:19], v50 offset1:16
	ds_read2_b64 v[20:23], v50 offset0:64 offset1:80
	ds_read_b64 v[24:25], v50 offset:768
	v_mov_b32_e32 v28, v9
	s_waitcnt lgkmcnt(3)
	v_pk_mul_f32 v[30:31], v[8:9], v[14:15] op_sel:[0,1] op_sel_hi:[1,0]
	v_pk_mul_f32 v[26:27], v[8:9], v[14:15]
	v_mov_b32_e32 v30, v31
	s_waitcnt lgkmcnt(1)
	v_pk_mul_f32 v[32:33], v[10:11], v[20:21] op_sel:[0,1] op_sel_hi:[1,0]
	v_pk_fma_f32 v[8:9], v[8:9], v[14:15], v[30:31] op_sel:[0,1,0] op_sel_hi:[1,0,1] neg_lo:[0,0,1] neg_hi:[0,0,1]
	v_mov_b32_e32 v30, v11
	v_mov_b32_e32 v32, v33
	v_pk_mul_f32 v[28:29], v[28:29], v[14:15] op_sel:[0,1] op_sel_hi:[1,0]
	v_pk_mul_f32 v[14:15], v[10:11], v[20:21]
	v_pk_mul_f32 v[30:31], v[30:31], v[20:21] op_sel:[0,1] op_sel_hi:[1,0]
	v_pk_fma_f32 v[10:11], v[10:11], v[20:21], v[32:33] op_sel:[0,1,0] op_sel_hi:[1,0,1] neg_lo:[0,0,1] neg_hi:[0,0,1]
	v_mov_b32_e32 v20, v19
	v_pk_mul_f32 v[32:33], v[4:5], v[18:19] op_sel_hi:[1,0]
	s_mov_b32 s4, 0x3f08b237
	v_pk_fma_f32 v[20:21], v[4:5], v[20:21], v[32:33] op_sel:[0,0,1] op_sel_hi:[1,1,0] neg_lo:[0,0,1] neg_hi:[0,0,1]
	v_pk_fma_f32 v[4:5], v[4:5], v[18:19], v[32:33] op_sel:[0,1,1] op_sel_hi:[1,1,0]
	v_pk_mul_f32 v[18:19], v[6:7], v[12:13] op_sel_hi:[1,0]
	v_mov_b32_e32 v4, v13
	v_mov_b32_e32 v21, v5
	v_pk_fma_f32 v[4:5], v[6:7], v[4:5], v[18:19] op_sel:[0,0,1] op_sel_hi:[1,1,0] neg_lo:[0,0,1] neg_hi:[0,0,1]
	v_pk_fma_f32 v[6:7], v[6:7], v[12:13], v[18:19] op_sel:[0,1,1] op_sel_hi:[1,1,0]
	v_pk_mul_f32 v[12:13], v[0:1], v[22:23] op_sel_hi:[1,0]
	v_mov_b32_e32 v6, v23
	v_mov_b32_e32 v5, v7
	v_pk_fma_f32 v[6:7], v[0:1], v[6:7], v[12:13] op_sel:[0,0,1] op_sel_hi:[1,1,0] neg_lo:[0,0,1] neg_hi:[0,0,1]
	v_pk_fma_f32 v[0:1], v[0:1], v[22:23], v[12:13] op_sel:[0,1,1] op_sel_hi:[1,1,0]
	s_waitcnt lgkmcnt(0)
	v_pk_mul_f32 v[12:13], v[2:3], v[24:25] op_sel_hi:[1,0]
	v_mov_b32_e32 v0, v25
	v_mov_b32_e32 v7, v1
	v_pk_fma_f32 v[0:1], v[2:3], v[0:1], v[12:13] op_sel:[0,0,1] op_sel_hi:[1,1,0] neg_lo:[0,0,1] neg_hi:[0,0,1]
	v_pk_fma_f32 v[2:3], v[2:3], v[24:25], v[12:13] op_sel:[0,1,1] op_sel_hi:[1,1,0]
	v_mov_b32_e32 v15, v20
	v_mov_b32_e32 v1, v3
	;; [unrolled: 1-line block ×5, first 2 shown]
	v_pk_add_f32 v[2:3], v[20:21], v[0:1]
	v_pk_add_f32 v[12:13], v[20:21], v[0:1] neg_lo:[0,1] neg_hi:[0,1]
	v_pk_add_f32 v[18:19], v[4:5], v[6:7]
	v_pk_add_f32 v[22:23], v[4:5], v[6:7] neg_lo:[0,1] neg_hi:[0,1]
	v_pk_add_f32 v[0:1], v[14:15], v[30:31]
	v_pk_add_f32 v[4:5], v[26:27], v[28:29]
	v_mov_b32_e32 v11, v0
	v_mov_b32_e32 v9, v4
	v_pk_add_f32 v[6:7], v[10:11], v[8:9] neg_lo:[0,1] neg_hi:[0,1]
	v_mov_b32_e32 v26, v19
	v_mov_b32_e32 v27, v8
	;; [unrolled: 1-line block ×8, first 2 shown]
	v_pk_add_f32 v[8:9], v[26:27], v[8:9]
	v_pk_add_f32 v[10:11], v[4:5], v[0:1]
	s_mov_b32 s14, 0x3d64c772
	v_pk_add_f32 v[14:15], v[14:15], v[20:21] neg_lo:[0,1] neg_hi:[0,1]
	s_mov_b32 s5, 0xbeae86e6
	v_mov_b32_e32 v20, v12
	v_mov_b32_e32 v24, v6
	;; [unrolled: 1-line block ×8, first 2 shown]
	s_mov_b32 s15, 0x3f4a47b2
	v_pk_add_f32 v[20:21], v[20:21], v[24:25] neg_lo:[0,1] neg_hi:[0,1]
	s_mov_b32 s6, s5
	s_mov_b32 s7, s4
	v_pk_add_f32 v[26:27], v[0:1], v[26:27] neg_lo:[0,1] neg_hi:[0,1]
	v_pk_add_f32 v[28:29], v[28:29], v[4:5] neg_lo:[0,1] neg_hi:[0,1]
	v_pk_add_f32 v[8:9], v[8:9], v[10:11]
	s_mov_b32 s16, s15
	s_mov_b32 s17, s14
	v_pk_mul_f32 v[14:15], v[14:15], s[4:5]
	v_pk_mul_f32 v[24:25], v[20:21], s[6:7]
	v_pk_add_f32 v[6:7], v[6:7], v[22:23]
	v_pk_add_f32 v[10:11], v[16:17], v[8:9]
	s_mov_b32 s10, 0xbf955555
	v_pk_mul_f32 v[16:17], v[26:27], s[14:15]
	v_pk_mul_f32 v[26:27], v[28:29], s[16:17]
	v_mov_b32_e32 v4, v19
	v_mov_b32_e32 v0, v3
	v_pk_add_f32 v[6:7], v[6:7], v[12:13]
	v_pk_fma_f32 v[8:9], v[8:9], s[10:11], v[10:11] op_sel_hi:[1,0,1]
	v_pk_fma_f32 v[20:21], v[20:21], s[6:7], v[14:15]
	v_pk_add_f32 v[12:13], v[22:23], v[12:13] neg_lo:[0,1] neg_hi:[0,1]
	s_mov_b32 s6, 0xbf5ff5aa
	v_pk_add_f32 v[0:1], v[4:5], v[0:1] neg_lo:[0,1] neg_hi:[0,1]
	s_mov_b32 s10, 0x3f3bfb3b
	v_mov_b32_e32 v2, v26
	v_mov_b32_e32 v3, v17
	;; [unrolled: 1-line block ×4, first 2 shown]
	s_mov_b32 s4, 0xbee1c552
	v_pk_fma_f32 v[28:29], v[28:29], s[16:17], v[16:17]
	v_pk_fma_f32 v[2:3], v[0:1], s[10:11], v[2:3] op_sel_hi:[1,0,1] neg_lo:[1,0,1] neg_hi:[1,0,1]
	v_pk_fma_f32 v[4:5], v[12:13], s[6:7], v[4:5] op_sel_hi:[1,0,1] neg_lo:[1,0,1] neg_hi:[1,0,1]
	v_pk_add_f32 v[28:29], v[28:29], v[8:9]
	v_pk_fma_f32 v[20:21], v[6:7], s[4:5], v[20:21] op_sel_hi:[1,0,1]
	v_pk_add_f32 v[2:3], v[2:3], v[8:9]
	v_pk_fma_f32 v[4:5], v[6:7], s[4:5], v[4:5] op_sel_hi:[1,0,1]
	v_pk_add_f32 v[30:31], v[28:29], v[20:21]
	v_pk_add_f32 v[20:21], v[28:29], v[20:21] neg_lo:[0,1] neg_hi:[0,1]
	v_pk_add_f32 v[18:19], v[2:3], v[4:5]
	v_pk_add_f32 v[2:3], v[2:3], v[4:5] neg_lo:[0,1] neg_hi:[0,1]
	ds_write_b64 v50, v[10:11]
	v_mov_b32_e32 v10, v30
	v_mov_b32_e32 v11, v21
	;; [unrolled: 1-line block ×6, first 2 shown]
	ds_write2_b64 v49, v[10:11], v[4:5] offset0:16 offset1:32
	v_pk_fma_f32 v[0:1], v[0:1], s[10:11], v[16:17] op_sel_hi:[1,0,1] neg_lo:[0,0,1] neg_hi:[0,0,1]
	v_pk_fma_f32 v[4:5], v[12:13], s[6:7], v[14:15] op_sel_hi:[1,0,1] neg_lo:[0,0,1] neg_hi:[0,0,1]
	v_pk_add_f32 v[0:1], v[0:1], v[8:9]
	v_pk_fma_f32 v[4:5], v[6:7], s[4:5], v[4:5] op_sel_hi:[1,0,1]
	v_mov_b32_e32 v3, v19
	v_pk_add_f32 v[6:7], v[0:1], v[4:5] neg_lo:[0,1] neg_hi:[0,1]
	v_pk_add_f32 v[0:1], v[0:1], v[4:5]
	v_mov_b32_e32 v4, v6
	v_mov_b32_e32 v5, v1
	v_mov_b32_e32 v1, v7
	v_mov_b32_e32 v21, v31
	ds_write2_b64 v49, v[4:5], v[0:1] offset0:48 offset1:64
	ds_write2_b64 v49, v[2:3], v[20:21] offset0:80 offset1:96
	s_waitcnt lgkmcnt(0)
	s_barrier
	s_and_b64 exec, exec, vcc
	s_cbranch_execz .LBB0_15
; %bb.14:
	global_load_dwordx2 v[8:9], v45, s[8:9]
	global_load_dwordx2 v[10:11], v45, s[8:9] offset:56
	global_load_dwordx2 v[12:13], v45, s[8:9] offset:112
	;; [unrolled: 1-line block ×4, first 2 shown]
	ds_read2_b64 v[4:7], v49 offset0:7 offset1:14
	ds_read2_b64 v[0:3], v49 offset0:21 offset1:28
	global_load_dwordx2 v[16:17], v45, s[8:9] offset:280
	global_load_dwordx2 v[20:21], v45, s[8:9] offset:336
	;; [unrolled: 1-line block ×3, first 2 shown]
	ds_read_b64 v[30:31], v50
	ds_read_b64 v[32:33], v49 offset:840
	v_mad_u64_u32 v[26:27], s[4:5], s2, v44, 0
	v_mad_u64_u32 v[28:29], s[6:7], s0, v47, 0
	v_mov_b32_e32 v34, v27
	v_mov_b32_e32 v36, v29
	v_mad_u64_u32 v[34:35], s[6:7], s3, v44, v[34:35]
	v_mov_b32_e32 v24, s12
	v_mov_b32_e32 v25, s13
	;; [unrolled: 3-line block ×3, first 2 shown]
	v_lshl_add_u64 v[24:25], v[26:27], 3, v[24:25]
	v_lshl_add_u64 v[26:27], v[28:29], 3, v[24:25]
	s_mul_i32 s2, s1, 56
	v_mad_u64_u32 v[28:29], s[6:7], s0, 56, v[26:27]
	s_mov_b32 s4, 0x92492492
	v_add_u32_e32 v29, s2, v29
	s_mov_b32 s5, 0x3f824924
	v_mad_u64_u32 v[34:35], s[6:7], s0, 56, v[28:29]
	v_add_u32_e32 v35, s2, v35
	v_mad_u64_u32 v[36:37], s[6:7], s0, 56, v[34:35]
	v_add_u32_e32 v37, s2, v37
	s_waitcnt vmcnt(7) lgkmcnt(1)
	v_mul_f32_e32 v38, v31, v9
	s_waitcnt vmcnt(6)
	v_mul_f32_e32 v39, v5, v11
	s_waitcnt vmcnt(5)
	v_mul_f32_e32 v40, v7, v13
	v_mul_f32_e32 v13, v6, v13
	s_waitcnt vmcnt(4)
	v_mul_f32_e32 v41, v1, v19
	v_mul_f32_e32 v19, v0, v19
	v_fmac_f32_e32 v38, v30, v8
	v_fmac_f32_e32 v39, v4, v10
	v_mul_f32_e32 v9, v30, v9
	v_fmac_f32_e32 v40, v6, v12
	v_fma_f32 v12, v12, v7, -v13
	v_fmac_f32_e32 v41, v0, v18
	v_fma_f32 v30, v18, v1, -v19
	v_cvt_f64_f32_e32 v[0:1], v38
	v_cvt_f64_f32_e32 v[6:7], v39
	global_load_dwordx2 v[38:39], v45, s[8:9] offset:448
	v_mul_f32_e32 v11, v4, v11
	v_fma_f32 v8, v8, v31, -v9
	v_fma_f32 v9, v10, v5, -v11
	v_cvt_f64_f32_e32 v[4:5], v8
	s_waitcnt vmcnt(4)
	v_mul_f32_e32 v42, v3, v15
	v_cvt_f64_f32_e32 v[8:9], v9
	v_cvt_f64_f32_e32 v[10:11], v40
	;; [unrolled: 1-line block ×5, first 2 shown]
	v_mul_f64 v[0:1], v[0:1], s[4:5]
	v_mul_f64 v[4:5], v[4:5], s[4:5]
	;; [unrolled: 1-line block ×8, first 2 shown]
	v_cvt_f32_f64_e32 v0, v[0:1]
	v_cvt_f32_f64_e32 v1, v[4:5]
	v_fmac_f32_e32 v42, v2, v14
	v_cvt_f32_f64_e32 v4, v[6:7]
	v_cvt_f32_f64_e32 v5, v[8:9]
	;; [unrolled: 1-line block ×6, first 2 shown]
	global_store_dwordx2 v[26:27], v[0:1], off
	global_store_dwordx2 v[28:29], v[4:5], off
	global_store_dwordx2 v[34:35], v[6:7], off
	global_store_dwordx2 v[36:37], v[8:9], off
	v_cvt_f64_f32_e32 v[0:1], v42
	global_load_dwordx2 v[4:5], v45, s[8:9] offset:504
	v_mul_f64 v[0:1], v[0:1], s[4:5]
	v_cvt_f32_f64_e32 v6, v[0:1]
	v_mul_f32_e32 v0, v2, v15
	v_fma_f32 v0, v14, v3, -v0
	v_cvt_f64_f32_e32 v[0:1], v0
	v_mul_f64 v[0:1], v[0:1], s[4:5]
	v_mad_u64_u32 v[8:9], s[6:7], s0, 56, v[36:37]
	v_cvt_f32_f64_e32 v7, v[0:1]
	v_add_u32_e32 v9, s2, v9
	global_store_dwordx2 v[8:9], v[6:7], off
	global_load_dwordx2 v[6:7], v45, s[8:9] offset:560
	ds_read2_b64 v[0:3], v49 offset0:35 offset1:42
	v_mad_u64_u32 v[8:9], s[6:7], s0, 56, v[8:9]
	v_add_u32_e32 v9, s2, v9
	global_load_dwordx2 v[14:15], v45, s[8:9] offset:672
	s_waitcnt vmcnt(11) lgkmcnt(0)
	v_mul_f32_e32 v10, v1, v17
	v_fmac_f32_e32 v10, v0, v16
	v_mul_f32_e32 v0, v0, v17
	v_fma_f32 v0, v16, v1, -v0
	v_cvt_f64_f32_e32 v[10:11], v10
	v_cvt_f64_f32_e32 v[0:1], v0
	v_mul_f64 v[10:11], v[10:11], s[4:5]
	v_mul_f64 v[0:1], v[0:1], s[4:5]
	v_cvt_f32_f64_e32 v10, v[10:11]
	v_cvt_f32_f64_e32 v11, v[0:1]
	global_store_dwordx2 v[8:9], v[10:11], off
	global_load_dwordx2 v[10:11], v45, s[8:9] offset:616
	s_waitcnt vmcnt(12)
	v_mul_f32_e32 v0, v3, v21
	v_fmac_f32_e32 v0, v2, v20
	v_cvt_f64_f32_e32 v[0:1], v0
	v_mul_f64 v[0:1], v[0:1], s[4:5]
	v_cvt_f32_f64_e32 v12, v[0:1]
	v_mul_f32_e32 v0, v2, v21
	v_fma_f32 v0, v20, v3, -v0
	v_cvt_f64_f32_e32 v[0:1], v0
	v_mul_f64 v[0:1], v[0:1], s[4:5]
	v_cvt_f32_f64_e32 v13, v[0:1]
	ds_read2_b64 v[0:3], v49 offset0:49 offset1:56
	v_mad_u64_u32 v[8:9], s[6:7], s0, 56, v[8:9]
	v_add_u32_e32 v9, s2, v9
	global_store_dwordx2 v[8:9], v[12:13], off
	s_waitcnt vmcnt(12) lgkmcnt(0)
	v_mul_f32_e32 v12, v1, v23
	v_fmac_f32_e32 v12, v0, v22
	v_mul_f32_e32 v0, v0, v23
	v_fma_f32 v0, v22, v1, -v0
	v_cvt_f64_f32_e32 v[12:13], v12
	v_cvt_f64_f32_e32 v[0:1], v0
	v_mul_f64 v[12:13], v[12:13], s[4:5]
	v_mul_f64 v[0:1], v[0:1], s[4:5]
	v_cvt_f32_f64_e32 v12, v[12:13]
	v_cvt_f32_f64_e32 v13, v[0:1]
	s_waitcnt vmcnt(11)
	v_mul_f32_e32 v0, v3, v39
	v_fmac_f32_e32 v0, v2, v38
	v_mad_u64_u32 v[8:9], s[6:7], s0, 56, v[8:9]
	v_cvt_f64_f32_e32 v[0:1], v0
	v_add_u32_e32 v9, s2, v9
	v_mul_f64 v[0:1], v[0:1], s[4:5]
	global_store_dwordx2 v[8:9], v[12:13], off
	v_cvt_f32_f64_e32 v12, v[0:1]
	v_mul_f32_e32 v0, v2, v39
	v_fma_f32 v0, v38, v3, -v0
	v_cvt_f64_f32_e32 v[0:1], v0
	v_mul_f64 v[0:1], v[0:1], s[4:5]
	v_cvt_f32_f64_e32 v13, v[0:1]
	v_mad_u64_u32 v[16:17], s[6:7], s0, v46, 0
	ds_read2_b64 v[0:3], v49 offset0:63 offset1:70
	v_mov_b32_e32 v18, v17
	v_mad_u64_u32 v[18:19], s[6:7], s1, v46, v[18:19]
	v_mov_b32_e32 v17, v18
	v_lshl_add_u64 v[16:17], v[16:17], 3, v[24:25]
	global_store_dwordx2 v[16:17], v[12:13], off
	s_mulk_i32 s1, 0x70
	s_waitcnt vmcnt(8) lgkmcnt(0)
	v_mul_f32_e32 v12, v1, v5
	v_fmac_f32_e32 v12, v0, v4
	v_mul_f32_e32 v0, v0, v5
	v_fma_f32 v0, v4, v1, -v0
	v_cvt_f64_f32_e32 v[12:13], v12
	v_cvt_f64_f32_e32 v[0:1], v0
	v_mul_f64 v[12:13], v[12:13], s[4:5]
	v_mul_f64 v[0:1], v[0:1], s[4:5]
	v_cvt_f32_f64_e32 v12, v[12:13]
	v_cvt_f32_f64_e32 v13, v[0:1]
	v_mov_b32_e32 v0, 0x70
	v_mad_u64_u32 v[4:5], s[6:7], s0, v0, v[8:9]
	s_waitcnt vmcnt(6)
	v_mul_f32_e32 v0, v3, v7
	v_fmac_f32_e32 v0, v2, v6
	v_cvt_f64_f32_e32 v[0:1], v0
	v_mul_f64 v[0:1], v[0:1], s[4:5]
	v_cvt_f32_f64_e32 v8, v[0:1]
	v_mul_f32_e32 v0, v2, v7
	v_fma_f32 v0, v6, v3, -v0
	v_cvt_f64_f32_e32 v[0:1], v0
	v_mul_f64 v[0:1], v[0:1], s[4:5]
	v_cvt_f32_f64_e32 v9, v[0:1]
	ds_read2_b64 v[0:3], v49 offset0:77 offset1:84
	v_add_u32_e32 v5, s1, v5
	global_store_dwordx2 v[4:5], v[12:13], off
	v_mad_u64_u32 v[4:5], s[6:7], s0, 56, v[4:5]
	v_add_u32_e32 v5, s2, v5
	s_waitcnt vmcnt(4) lgkmcnt(0)
	v_mul_f32_e32 v6, v1, v11
	v_fmac_f32_e32 v6, v0, v10
	v_mul_f32_e32 v0, v0, v11
	v_fma_f32 v0, v10, v1, -v0
	v_cvt_f64_f32_e32 v[6:7], v6
	v_cvt_f64_f32_e32 v[0:1], v0
	v_mul_f64 v[6:7], v[6:7], s[4:5]
	v_mul_f64 v[0:1], v[0:1], s[4:5]
	global_store_dwordx2 v[4:5], v[8:9], off
	v_cvt_f32_f64_e32 v6, v[6:7]
	v_cvt_f32_f64_e32 v7, v[0:1]
	v_mad_u64_u32 v[0:1], s[6:7], s0, 56, v[4:5]
	v_mul_f32_e32 v4, v3, v15
	v_fmac_f32_e32 v4, v2, v14
	v_mul_f32_e32 v2, v2, v15
	v_fma_f32 v2, v14, v3, -v2
	v_add_u32_e32 v1, s2, v1
	v_cvt_f64_f32_e32 v[4:5], v4
	v_cvt_f64_f32_e32 v[2:3], v2
	global_store_dwordx2 v[0:1], v[6:7], off
	v_mul_f64 v[4:5], v[4:5], s[4:5]
	v_mul_f64 v[2:3], v[2:3], s[4:5]
	v_mad_u64_u32 v[6:7], s[6:7], s0, 56, v[0:1]
	v_cvt_f32_f64_e32 v4, v[4:5]
	v_cvt_f32_f64_e32 v5, v[2:3]
	v_add_u32_e32 v7, s2, v7
	global_store_dwordx2 v[6:7], v[4:5], off
	global_load_dwordx2 v[4:5], v45, s[8:9] offset:728
	ds_read2_b64 v[0:3], v49 offset0:91 offset1:98
	s_waitcnt vmcnt(0) lgkmcnt(0)
	v_mul_f32_e32 v8, v1, v5
	v_fmac_f32_e32 v8, v0, v4
	v_mul_f32_e32 v0, v0, v5
	v_fma_f32 v0, v4, v1, -v0
	v_cvt_f64_f32_e32 v[8:9], v8
	v_cvt_f64_f32_e32 v[0:1], v0
	v_mul_f64 v[8:9], v[8:9], s[4:5]
	v_mul_f64 v[0:1], v[0:1], s[4:5]
	v_cvt_f32_f64_e32 v8, v[8:9]
	v_cvt_f32_f64_e32 v9, v[0:1]
	v_mad_u64_u32 v[0:1], s[6:7], s0, 56, v[6:7]
	v_add_u32_e32 v1, s2, v1
	global_store_dwordx2 v[0:1], v[8:9], off
	global_load_dwordx2 v[4:5], v45, s[8:9] offset:784
	v_mad_u64_u32 v[0:1], s[6:7], s0, 56, v[0:1]
	v_add_u32_e32 v1, s2, v1
	s_waitcnt vmcnt(0)
	v_mul_f32_e32 v6, v3, v5
	v_mul_f32_e32 v5, v2, v5
	v_fmac_f32_e32 v6, v2, v4
	v_fma_f32 v4, v4, v3, -v5
	v_cvt_f64_f32_e32 v[2:3], v6
	v_cvt_f64_f32_e32 v[4:5], v4
	v_mul_f64 v[2:3], v[2:3], s[4:5]
	v_mul_f64 v[4:5], v[4:5], s[4:5]
	v_cvt_f32_f64_e32 v2, v[2:3]
	v_cvt_f32_f64_e32 v3, v[4:5]
	global_store_dwordx2 v[0:1], v[2:3], off
	global_load_dwordx2 v[2:3], v45, s[8:9] offset:840
	v_mad_u64_u32 v[0:1], s[0:1], s0, 56, v[0:1]
	v_add_u32_e32 v1, s2, v1
	s_waitcnt vmcnt(0)
	v_mul_f32_e32 v4, v33, v3
	v_mul_f32_e32 v3, v32, v3
	v_fmac_f32_e32 v4, v32, v2
	v_fma_f32 v5, v2, v33, -v3
	v_cvt_f64_f32_e32 v[2:3], v4
	v_cvt_f64_f32_e32 v[4:5], v5
	v_mul_f64 v[2:3], v[2:3], s[4:5]
	v_mul_f64 v[4:5], v[4:5], s[4:5]
	v_cvt_f32_f64_e32 v2, v[2:3]
	v_cvt_f32_f64_e32 v3, v[4:5]
	global_store_dwordx2 v[0:1], v[2:3], off
.LBB0_15:
	s_endpgm
	.section	.rodata,"a",@progbits
	.p2align	6, 0x0
	.amdhsa_kernel bluestein_single_fwd_len112_dim1_sp_op_CI_CI
		.amdhsa_group_segment_fixed_size 14336
		.amdhsa_private_segment_fixed_size 0
		.amdhsa_kernarg_size 104
		.amdhsa_user_sgpr_count 2
		.amdhsa_user_sgpr_dispatch_ptr 0
		.amdhsa_user_sgpr_queue_ptr 0
		.amdhsa_user_sgpr_kernarg_segment_ptr 1
		.amdhsa_user_sgpr_dispatch_id 0
		.amdhsa_user_sgpr_kernarg_preload_length 0
		.amdhsa_user_sgpr_kernarg_preload_offset 0
		.amdhsa_user_sgpr_private_segment_size 0
		.amdhsa_uses_dynamic_stack 0
		.amdhsa_enable_private_segment 0
		.amdhsa_system_sgpr_workgroup_id_x 1
		.amdhsa_system_sgpr_workgroup_id_y 0
		.amdhsa_system_sgpr_workgroup_id_z 0
		.amdhsa_system_sgpr_workgroup_info 0
		.amdhsa_system_vgpr_workitem_id 0
		.amdhsa_next_free_vgpr 126
		.amdhsa_next_free_sgpr 22
		.amdhsa_accum_offset 128
		.amdhsa_reserve_vcc 1
		.amdhsa_float_round_mode_32 0
		.amdhsa_float_round_mode_16_64 0
		.amdhsa_float_denorm_mode_32 3
		.amdhsa_float_denorm_mode_16_64 3
		.amdhsa_dx10_clamp 1
		.amdhsa_ieee_mode 1
		.amdhsa_fp16_overflow 0
		.amdhsa_tg_split 0
		.amdhsa_exception_fp_ieee_invalid_op 0
		.amdhsa_exception_fp_denorm_src 0
		.amdhsa_exception_fp_ieee_div_zero 0
		.amdhsa_exception_fp_ieee_overflow 0
		.amdhsa_exception_fp_ieee_underflow 0
		.amdhsa_exception_fp_ieee_inexact 0
		.amdhsa_exception_int_div_zero 0
	.end_amdhsa_kernel
	.text
.Lfunc_end0:
	.size	bluestein_single_fwd_len112_dim1_sp_op_CI_CI, .Lfunc_end0-bluestein_single_fwd_len112_dim1_sp_op_CI_CI
                                        ; -- End function
	.section	.AMDGPU.csdata,"",@progbits
; Kernel info:
; codeLenInByte = 7484
; NumSgprs: 28
; NumVgprs: 126
; NumAgprs: 0
; TotalNumVgprs: 126
; ScratchSize: 0
; MemoryBound: 0
; FloatMode: 240
; IeeeMode: 1
; LDSByteSize: 14336 bytes/workgroup (compile time only)
; SGPRBlocks: 3
; VGPRBlocks: 15
; NumSGPRsForWavesPerEU: 28
; NumVGPRsForWavesPerEU: 126
; AccumOffset: 128
; Occupancy: 4
; WaveLimiterHint : 1
; COMPUTE_PGM_RSRC2:SCRATCH_EN: 0
; COMPUTE_PGM_RSRC2:USER_SGPR: 2
; COMPUTE_PGM_RSRC2:TRAP_HANDLER: 0
; COMPUTE_PGM_RSRC2:TGID_X_EN: 1
; COMPUTE_PGM_RSRC2:TGID_Y_EN: 0
; COMPUTE_PGM_RSRC2:TGID_Z_EN: 0
; COMPUTE_PGM_RSRC2:TIDIG_COMP_CNT: 0
; COMPUTE_PGM_RSRC3_GFX90A:ACCUM_OFFSET: 31
; COMPUTE_PGM_RSRC3_GFX90A:TG_SPLIT: 0
	.text
	.p2alignl 6, 3212836864
	.fill 256, 4, 3212836864
	.type	__hip_cuid_25af5fafcdcfe63,@object ; @__hip_cuid_25af5fafcdcfe63
	.section	.bss,"aw",@nobits
	.globl	__hip_cuid_25af5fafcdcfe63
__hip_cuid_25af5fafcdcfe63:
	.byte	0                               ; 0x0
	.size	__hip_cuid_25af5fafcdcfe63, 1

	.ident	"AMD clang version 19.0.0git (https://github.com/RadeonOpenCompute/llvm-project roc-6.4.0 25133 c7fe45cf4b819c5991fe208aaa96edf142730f1d)"
	.section	".note.GNU-stack","",@progbits
	.addrsig
	.addrsig_sym __hip_cuid_25af5fafcdcfe63
	.amdgpu_metadata
---
amdhsa.kernels:
  - .agpr_count:     0
    .args:
      - .actual_access:  read_only
        .address_space:  global
        .offset:         0
        .size:           8
        .value_kind:     global_buffer
      - .actual_access:  read_only
        .address_space:  global
        .offset:         8
        .size:           8
        .value_kind:     global_buffer
      - .actual_access:  read_only
        .address_space:  global
        .offset:         16
        .size:           8
        .value_kind:     global_buffer
      - .actual_access:  read_only
        .address_space:  global
        .offset:         24
        .size:           8
        .value_kind:     global_buffer
      - .actual_access:  read_only
        .address_space:  global
        .offset:         32
        .size:           8
        .value_kind:     global_buffer
      - .offset:         40
        .size:           8
        .value_kind:     by_value
      - .address_space:  global
        .offset:         48
        .size:           8
        .value_kind:     global_buffer
      - .address_space:  global
        .offset:         56
        .size:           8
        .value_kind:     global_buffer
      - .address_space:  global
        .offset:         64
        .size:           8
        .value_kind:     global_buffer
      - .address_space:  global
        .offset:         72
        .size:           8
        .value_kind:     global_buffer
      - .offset:         80
        .size:           4
        .value_kind:     by_value
      - .address_space:  global
        .offset:         88
        .size:           8
        .value_kind:     global_buffer
      - .address_space:  global
        .offset:         96
        .size:           8
        .value_kind:     global_buffer
    .group_segment_fixed_size: 14336
    .kernarg_segment_align: 8
    .kernarg_segment_size: 104
    .language:       OpenCL C
    .language_version:
      - 2
      - 0
    .max_flat_workgroup_size: 256
    .name:           bluestein_single_fwd_len112_dim1_sp_op_CI_CI
    .private_segment_fixed_size: 0
    .sgpr_count:     28
    .sgpr_spill_count: 0
    .symbol:         bluestein_single_fwd_len112_dim1_sp_op_CI_CI.kd
    .uniform_work_group_size: 1
    .uses_dynamic_stack: false
    .vgpr_count:     126
    .vgpr_spill_count: 0
    .wavefront_size: 64
amdhsa.target:   amdgcn-amd-amdhsa--gfx950
amdhsa.version:
  - 1
  - 2
...

	.end_amdgpu_metadata
